;; amdgpu-corpus repo=ROCm/rocFFT kind=compiled arch=gfx906 opt=O3
	.text
	.amdgcn_target "amdgcn-amd-amdhsa--gfx906"
	.amdhsa_code_object_version 6
	.protected	fft_rtc_fwd_len390_factors_13_3_10_wgs_117_tpt_39_half_op_CI_CI_unitstride_sbrr_R2C_dirReg ; -- Begin function fft_rtc_fwd_len390_factors_13_3_10_wgs_117_tpt_39_half_op_CI_CI_unitstride_sbrr_R2C_dirReg
	.globl	fft_rtc_fwd_len390_factors_13_3_10_wgs_117_tpt_39_half_op_CI_CI_unitstride_sbrr_R2C_dirReg
	.p2align	8
	.type	fft_rtc_fwd_len390_factors_13_3_10_wgs_117_tpt_39_half_op_CI_CI_unitstride_sbrr_R2C_dirReg,@function
fft_rtc_fwd_len390_factors_13_3_10_wgs_117_tpt_39_half_op_CI_CI_unitstride_sbrr_R2C_dirReg: ; @fft_rtc_fwd_len390_factors_13_3_10_wgs_117_tpt_39_half_op_CI_CI_unitstride_sbrr_R2C_dirReg
; %bb.0:
	v_mul_u32_u24_e32 v1, 0x691, v0
	s_load_dwordx4 s[8:11], s[4:5], 0x58
	s_load_dwordx4 s[12:15], s[4:5], 0x0
	;; [unrolled: 1-line block ×3, first 2 shown]
	v_lshrrev_b32_e32 v1, 16, v1
	v_mad_u64_u32 v[8:9], s[0:1], s6, 3, v[1:2]
	v_mov_b32_e32 v10, 0
	s_waitcnt lgkmcnt(0)
	v_cmp_lt_u64_e64 s[0:1], s[14:15], 2
	v_mov_b32_e32 v6, 0
	v_mov_b32_e32 v9, v10
	;; [unrolled: 1-line block ×5, first 2 shown]
	s_and_b64 vcc, exec, s[0:1]
	v_mov_b32_e32 v2, v7
	v_mov_b32_e32 v4, v9
	s_cbranch_vccnz .LBB0_8
; %bb.1:
	s_load_dwordx2 s[0:1], s[4:5], 0x10
	s_add_u32 s2, s18, 8
	s_addc_u32 s3, s19, 0
	s_add_u32 s6, s16, 8
	s_addc_u32 s7, s17, 0
	v_mov_b32_e32 v6, 0
	s_waitcnt lgkmcnt(0)
	s_add_u32 s20, s0, 8
	v_mov_b32_e32 v7, 0
	v_mov_b32_e32 v1, v6
	;; [unrolled: 1-line block ×3, first 2 shown]
	s_addc_u32 s21, s1, 0
	s_mov_b64 s[22:23], 1
	v_mov_b32_e32 v2, v7
	v_mov_b32_e32 v12, v8
.LBB0_2:                                ; =>This Inner Loop Header: Depth=1
	s_load_dwordx2 s[24:25], s[20:21], 0x0
                                        ; implicit-def: $vgpr3_vgpr4
	s_waitcnt lgkmcnt(0)
	v_or_b32_e32 v11, s25, v13
	v_cmp_ne_u64_e32 vcc, 0, v[10:11]
	s_and_saveexec_b64 s[0:1], vcc
	s_xor_b64 s[26:27], exec, s[0:1]
	s_cbranch_execz .LBB0_4
; %bb.3:                                ;   in Loop: Header=BB0_2 Depth=1
	v_cvt_f32_u32_e32 v3, s24
	v_cvt_f32_u32_e32 v4, s25
	s_sub_u32 s0, 0, s24
	s_subb_u32 s1, 0, s25
	v_mac_f32_e32 v3, 0x4f800000, v4
	v_rcp_f32_e32 v3, v3
	v_mul_f32_e32 v3, 0x5f7ffffc, v3
	v_mul_f32_e32 v4, 0x2f800000, v3
	v_trunc_f32_e32 v4, v4
	v_mac_f32_e32 v3, 0xcf800000, v4
	v_cvt_u32_f32_e32 v4, v4
	v_cvt_u32_f32_e32 v3, v3
	v_mul_lo_u32 v5, s0, v4
	v_mul_hi_u32 v9, s0, v3
	v_mul_lo_u32 v14, s1, v3
	v_mul_lo_u32 v11, s0, v3
	v_add_u32_e32 v5, v9, v5
	v_add_u32_e32 v5, v5, v14
	v_mul_hi_u32 v9, v3, v11
	v_mul_lo_u32 v14, v3, v5
	v_mul_hi_u32 v16, v3, v5
	v_mul_hi_u32 v15, v4, v11
	v_mul_lo_u32 v11, v4, v11
	v_mul_hi_u32 v17, v4, v5
	v_add_co_u32_e32 v9, vcc, v9, v14
	v_addc_co_u32_e32 v14, vcc, 0, v16, vcc
	v_mul_lo_u32 v5, v4, v5
	v_add_co_u32_e32 v9, vcc, v9, v11
	v_addc_co_u32_e32 v9, vcc, v14, v15, vcc
	v_addc_co_u32_e32 v11, vcc, 0, v17, vcc
	v_add_co_u32_e32 v5, vcc, v9, v5
	v_addc_co_u32_e32 v9, vcc, 0, v11, vcc
	v_add_co_u32_e32 v3, vcc, v3, v5
	v_addc_co_u32_e32 v4, vcc, v4, v9, vcc
	v_mul_lo_u32 v5, s0, v4
	v_mul_hi_u32 v9, s0, v3
	v_mul_lo_u32 v11, s1, v3
	v_mul_lo_u32 v14, s0, v3
	v_add_u32_e32 v5, v9, v5
	v_add_u32_e32 v5, v5, v11
	v_mul_lo_u32 v15, v3, v5
	v_mul_hi_u32 v16, v3, v14
	v_mul_hi_u32 v17, v3, v5
	;; [unrolled: 1-line block ×3, first 2 shown]
	v_mul_lo_u32 v14, v4, v14
	v_mul_hi_u32 v9, v4, v5
	v_add_co_u32_e32 v15, vcc, v16, v15
	v_addc_co_u32_e32 v16, vcc, 0, v17, vcc
	v_mul_lo_u32 v5, v4, v5
	v_add_co_u32_e32 v14, vcc, v15, v14
	v_addc_co_u32_e32 v11, vcc, v16, v11, vcc
	v_addc_co_u32_e32 v9, vcc, 0, v9, vcc
	v_add_co_u32_e32 v5, vcc, v11, v5
	v_addc_co_u32_e32 v9, vcc, 0, v9, vcc
	v_add_co_u32_e32 v5, vcc, v3, v5
	v_addc_co_u32_e32 v9, vcc, v4, v9, vcc
	v_mad_u64_u32 v[3:4], s[0:1], v12, v9, 0
	v_mul_hi_u32 v11, v12, v5
	v_mad_u64_u32 v[14:15], s[0:1], v13, v9, 0
	v_add_co_u32_e32 v11, vcc, v11, v3
	v_addc_co_u32_e32 v16, vcc, 0, v4, vcc
	v_mad_u64_u32 v[3:4], s[0:1], v13, v5, 0
	v_add_co_u32_e32 v3, vcc, v11, v3
	v_addc_co_u32_e32 v3, vcc, v16, v4, vcc
	v_addc_co_u32_e32 v4, vcc, 0, v15, vcc
	v_add_co_u32_e32 v5, vcc, v3, v14
	v_addc_co_u32_e32 v9, vcc, 0, v4, vcc
	v_mul_lo_u32 v11, s25, v5
	v_mul_lo_u32 v14, s24, v9
	v_mad_u64_u32 v[3:4], s[0:1], s24, v5, 0
	v_add3_u32 v4, v4, v14, v11
	v_sub_u32_e32 v11, v13, v4
	v_mov_b32_e32 v14, s25
	v_sub_co_u32_e32 v3, vcc, v12, v3
	v_subb_co_u32_e64 v11, s[0:1], v11, v14, vcc
	v_subrev_co_u32_e64 v14, s[0:1], s24, v3
	v_subbrev_co_u32_e64 v11, s[0:1], 0, v11, s[0:1]
	v_cmp_le_u32_e64 s[0:1], s25, v11
	v_cndmask_b32_e64 v15, 0, -1, s[0:1]
	v_cmp_le_u32_e64 s[0:1], s24, v14
	v_cndmask_b32_e64 v14, 0, -1, s[0:1]
	v_cmp_eq_u32_e64 s[0:1], s25, v11
	v_cndmask_b32_e64 v11, v15, v14, s[0:1]
	v_add_co_u32_e64 v14, s[0:1], 2, v5
	v_addc_co_u32_e64 v15, s[0:1], 0, v9, s[0:1]
	v_add_co_u32_e64 v16, s[0:1], 1, v5
	v_addc_co_u32_e64 v17, s[0:1], 0, v9, s[0:1]
	v_subb_co_u32_e32 v4, vcc, v13, v4, vcc
	v_cmp_ne_u32_e64 s[0:1], 0, v11
	v_cmp_le_u32_e32 vcc, s25, v4
	v_cndmask_b32_e64 v11, v17, v15, s[0:1]
	v_cndmask_b32_e64 v15, 0, -1, vcc
	v_cmp_le_u32_e32 vcc, s24, v3
	v_cndmask_b32_e64 v3, 0, -1, vcc
	v_cmp_eq_u32_e32 vcc, s25, v4
	v_cndmask_b32_e32 v3, v15, v3, vcc
	v_cmp_ne_u32_e32 vcc, 0, v3
	v_cndmask_b32_e64 v3, v16, v14, s[0:1]
	v_cndmask_b32_e32 v4, v9, v11, vcc
	v_cndmask_b32_e32 v3, v5, v3, vcc
.LBB0_4:                                ;   in Loop: Header=BB0_2 Depth=1
	s_andn2_saveexec_b64 s[0:1], s[26:27]
	s_cbranch_execz .LBB0_6
; %bb.5:                                ;   in Loop: Header=BB0_2 Depth=1
	v_cvt_f32_u32_e32 v3, s24
	s_sub_i32 s26, 0, s24
	v_rcp_iflag_f32_e32 v3, v3
	v_mul_f32_e32 v3, 0x4f7ffffe, v3
	v_cvt_u32_f32_e32 v3, v3
	v_mul_lo_u32 v4, s26, v3
	v_mul_hi_u32 v4, v3, v4
	v_add_u32_e32 v3, v3, v4
	v_mul_hi_u32 v3, v12, v3
	v_mul_lo_u32 v4, v3, s24
	v_add_u32_e32 v5, 1, v3
	v_sub_u32_e32 v4, v12, v4
	v_subrev_u32_e32 v9, s24, v4
	v_cmp_le_u32_e32 vcc, s24, v4
	v_cndmask_b32_e32 v4, v4, v9, vcc
	v_cndmask_b32_e32 v3, v3, v5, vcc
	v_add_u32_e32 v5, 1, v3
	v_cmp_le_u32_e32 vcc, s24, v4
	v_cndmask_b32_e32 v3, v3, v5, vcc
	v_mov_b32_e32 v4, v10
.LBB0_6:                                ;   in Loop: Header=BB0_2 Depth=1
	s_or_b64 exec, exec, s[0:1]
	v_mul_lo_u32 v5, v4, s24
	v_mul_lo_u32 v9, v3, s25
	v_mad_u64_u32 v[14:15], s[0:1], v3, s24, 0
	s_load_dwordx2 s[0:1], s[6:7], 0x0
	s_load_dwordx2 s[24:25], s[2:3], 0x0
	v_add3_u32 v5, v15, v9, v5
	v_sub_co_u32_e32 v9, vcc, v12, v14
	v_subb_co_u32_e32 v5, vcc, v13, v5, vcc
	s_waitcnt lgkmcnt(0)
	v_mul_lo_u32 v11, s0, v5
	v_mul_lo_u32 v12, s1, v9
	v_mad_u64_u32 v[6:7], s[0:1], s0, v9, v[6:7]
	s_add_u32 s22, s22, 1
	s_addc_u32 s23, s23, 0
	s_add_u32 s2, s2, 8
	v_mul_lo_u32 v5, s24, v5
	v_mul_lo_u32 v13, s25, v9
	v_mad_u64_u32 v[1:2], s[0:1], s24, v9, v[1:2]
	v_add3_u32 v7, v12, v7, v11
	s_addc_u32 s3, s3, 0
	v_mov_b32_e32 v11, s14
	s_add_u32 s6, s6, 8
	v_mov_b32_e32 v12, s15
	s_addc_u32 s7, s7, 0
	v_cmp_ge_u64_e32 vcc, s[22:23], v[11:12]
	s_add_u32 s20, s20, 8
	v_add3_u32 v2, v13, v2, v5
	s_addc_u32 s21, s21, 0
	s_cbranch_vccnz .LBB0_8
; %bb.7:                                ;   in Loop: Header=BB0_2 Depth=1
	v_mov_b32_e32 v13, v4
	v_mov_b32_e32 v12, v3
	s_branch .LBB0_2
.LBB0_8:
	s_mov_b32 s2, 0xaaaaaaab
	s_load_dwordx2 s[0:1], s[4:5], 0x28
	v_mul_hi_u32 v5, v8, s2
	s_lshl_b64 s[6:7], s[14:15], 3
	s_add_u32 s2, s18, s6
	s_addc_u32 s3, s19, s7
	v_lshrrev_b32_e32 v5, 1, v5
	v_lshl_add_u32 v5, v5, 1, v5
	s_waitcnt lgkmcnt(0)
	v_cmp_gt_u64_e32 vcc, s[0:1], v[3:4]
	v_cmp_le_u64_e64 s[0:1], s[0:1], v[3:4]
	v_sub_u32_e32 v8, v8, v5
                                        ; implicit-def: $vgpr5
	s_and_saveexec_b64 s[4:5], s[0:1]
	s_xor_b64 s[0:1], exec, s[4:5]
; %bb.9:
	s_mov_b32 s4, 0x6906907
	v_mul_hi_u32 v5, v0, s4
                                        ; implicit-def: $vgpr6_vgpr7
	v_mul_u32_u24_e32 v5, 39, v5
	v_sub_u32_e32 v5, v0, v5
                                        ; implicit-def: $vgpr0
; %bb.10:
	s_or_saveexec_b64 s[4:5], s[0:1]
	v_mul_u32_u24_e32 v8, 0x187, v8
	v_lshlrev_b32_e32 v23, 2, v8
	s_xor_b64 exec, exec, s[4:5]
	s_cbranch_execz .LBB0_12
; %bb.11:
	s_add_u32 s0, s16, s6
	s_addc_u32 s1, s17, s7
	s_load_dwordx2 s[0:1], s[0:1], 0x0
	s_mov_b32 s6, 0x6906907
	v_mul_hi_u32 v5, v0, s6
	v_lshlrev_b64 v[6:7], 2, v[6:7]
	s_waitcnt lgkmcnt(0)
	v_mul_lo_u32 v10, s1, v3
	v_mul_lo_u32 v11, s0, v4
	v_mad_u64_u32 v[8:9], s[0:1], s0, v3, 0
	v_mul_u32_u24_e32 v5, 39, v5
	v_sub_u32_e32 v5, v0, v5
	v_add3_u32 v9, v9, v11, v10
	v_lshlrev_b64 v[8:9], 2, v[8:9]
	v_mov_b32_e32 v0, s9
	v_add_co_u32_e64 v8, s[0:1], s8, v8
	v_addc_co_u32_e64 v0, s[0:1], v0, v9, s[0:1]
	v_add_co_u32_e64 v6, s[0:1], v8, v6
	v_addc_co_u32_e64 v0, s[0:1], v0, v7, s[0:1]
	v_lshlrev_b32_e32 v8, 2, v5
	v_add_co_u32_e64 v6, s[0:1], v6, v8
	v_addc_co_u32_e64 v7, s[0:1], 0, v0, s[0:1]
	global_load_dword v0, v[6:7], off
	global_load_dword v9, v[6:7], off offset:156
	global_load_dword v10, v[6:7], off offset:312
	;; [unrolled: 1-line block ×9, first 2 shown]
	v_add3_u32 v6, 0, v23, v8
	v_add_u32_e32 v7, 0x200, v6
	v_add_u32_e32 v8, 0x400, v6
	s_waitcnt vmcnt(8)
	ds_write2_b32 v6, v0, v9 offset1:39
	s_waitcnt vmcnt(6)
	ds_write2_b32 v6, v10, v11 offset0:78 offset1:117
	s_waitcnt vmcnt(4)
	ds_write2_b32 v6, v12, v13 offset0:156 offset1:195
	;; [unrolled: 2-line block ×4, first 2 shown]
.LBB0_12:
	s_or_b64 exec, exec, s[4:5]
	v_lshlrev_b32_e32 v21, 2, v5
	v_add_u32_e32 v32, 0, v21
	v_add_u32_e32 v22, v32, v23
	;; [unrolled: 1-line block ×3, first 2 shown]
	s_waitcnt lgkmcnt(0)
	s_barrier
	ds_read2_b32 v[8:9], v28 offset0:74 offset1:104
	ds_read2_b32 v[10:11], v22 offset0:30 offset1:60
	v_add_u32_e32 v0, 0, v23
	v_add_u32_e32 v20, v0, v21
	ds_read_b32 v34, v20
	s_mov_b32 s20, 0xba95
	s_waitcnt lgkmcnt(1)
	v_pk_add_f16 v29, v10, v9 neg_lo:[0,1] neg_hi:[0,1]
	v_pk_add_f16 v30, v9, v10
	s_movk_i32 s6, 0x388b
	v_mul_f16_sdwa v46, v29, s20 dst_sel:DWORD dst_unused:UNUSED_PAD src0_sel:WORD_1 src1_sel:DWORD
	s_mov_b32 s7, 0xbb7b
	v_pk_add_f16 v31, v11, v8 neg_lo:[0,1] neg_hi:[0,1]
	v_fma_f16 v6, v30, s6, v46
	v_lshrrev_b32_e32 v37, 16, v30
	s_movk_i32 s8, 0x2fb7
	v_mul_f16_e32 v49, 0xbbf1, v29
	s_mov_b32 s9, 0xb5ac
	v_pk_add_f16 v33, v8, v11
	v_mul_f16_sdwa v48, v31, s7 dst_sel:DWORD dst_unused:UNUSED_PAD src0_sel:WORD_1 src1_sel:DWORD
	s_waitcnt lgkmcnt(0)
	v_add_f16_e32 v6, v34, v6
	v_fma_f16 v7, v37, s8, -v49
	v_fma_f16 v12, v33, s9, v48
	v_lshrrev_b32_e32 v40, 16, v33
	s_mov_b32 s14, 0xbbc4
	v_mul_f16_e32 v52, 0xb3a8, v31
	v_add_f16_sdwa v7, v34, v7 dst_sel:DWORD dst_unused:UNUSED_PAD src0_sel:WORD_1 src1_sel:DWORD
	v_mul_f16_sdwa v51, v29, s7 dst_sel:DWORD dst_unused:UNUSED_PAD src0_sel:WORD_1 src1_sel:DWORD
	v_add_f16_e32 v6, v12, v6
	v_fma_f16 v12, v40, s14, -v52
	s_movk_i32 s0, 0x394e
	v_add_f16_e32 v7, v12, v7
	v_fma_f16 v12, v30, s9, v51
	s_mov_b32 s15, 0xb9fd
	v_mul_f16_sdwa v54, v31, s0 dst_sel:DWORD dst_unused:UNUSED_PAD src0_sel:WORD_1 src1_sel:DWORD
	v_add_f16_e32 v12, v34, v12
	v_fma_f16 v13, v33, s15, v54
	v_mul_f16_e32 v57, 0xbb7b, v29
	v_add_f16_e32 v16, v13, v12
	v_fma_f16 v12, v37, s9, -v57
	v_add_f16_sdwa v17, v34, v12 dst_sel:DWORD dst_unused:UNUSED_PAD src0_sel:WORD_1 src1_sel:DWORD
	ds_read2_b32 v[14:15], v22 offset0:90 offset1:120
	ds_read2_b32 v[12:13], v28 offset0:14 offset1:44
	v_mul_f16_e32 v58, 0x394e, v31
	s_mov_b32 s16, 0xb3a8
	v_fma_f16 v18, v40, s15, -v58
	v_add_f16_e32 v17, v18, v17
	s_waitcnt lgkmcnt(0)
	v_pk_add_f16 v35, v14, v13 neg_lo:[0,1] neg_hi:[0,1]
	v_pk_add_f16 v36, v13, v14
	v_mul_f16_sdwa v53, v35, s16 dst_sel:DWORD dst_unused:UNUSED_PAD src0_sel:WORD_1 src1_sel:DWORD
	v_fma_f16 v18, v36, s14, v53
	v_lshrrev_b32_e32 v44, 16, v36
	v_mul_f16_e32 v56, 0x3b7b, v35
	s_movk_i32 s17, 0x3770
	v_add_f16_e32 v6, v18, v6
	v_fma_f16 v18, v44, s9, -v56
	s_movk_i32 s18, 0x3b15
	v_mul_f16_sdwa v59, v35, s17 dst_sel:DWORD dst_unused:UNUSED_PAD src0_sel:WORD_1 src1_sel:DWORD
	v_add_f16_e32 v7, v18, v7
	v_fma_f16 v18, v36, s18, v59
	v_mul_f16_e32 v63, 0x3770, v35
	v_pk_add_f16 v38, v15, v12 neg_lo:[0,1] neg_hi:[0,1]
	v_add_f16_e32 v16, v18, v16
	v_fma_f16 v18, v44, s18, -v63
	v_pk_add_f16 v39, v12, v15
	v_mul_f16_sdwa v55, v38, s0 dst_sel:DWORD dst_unused:UNUSED_PAD src0_sel:WORD_1 src1_sel:DWORD
	v_add_f16_e32 v24, v18, v17
	v_fma_f16 v17, v39, s15, v55
	v_lshrrev_b32_e32 v47, 16, v39
	v_mul_f16_e32 v60, 0x3770, v38
	s_mov_b32 s22, 0xbbf1
	v_add_f16_e32 v6, v17, v6
	v_fma_f16 v17, v47, s18, -v60
	v_mul_f16_sdwa v64, v38, s22 dst_sel:DWORD dst_unused:UNUSED_PAD src0_sel:WORD_1 src1_sel:DWORD
	v_add_f16_e32 v7, v17, v7
	v_fma_f16 v17, v39, s8, v64
	v_add_f16_e32 v25, v17, v16
	ds_read2_b32 v[18:19], v22 offset0:150 offset1:180
	ds_read2_b32 v[16:17], v22 offset0:210 offset1:240
	v_mul_f16_e32 v67, 0xbbf1, v38
	s_movk_i32 s19, 0x3bf1
	v_fma_f16 v26, v47, s8, -v67
	v_add_f16_e32 v24, v26, v24
	s_waitcnt lgkmcnt(0)
	v_pk_add_f16 v41, v18, v17 neg_lo:[0,1] neg_hi:[0,1]
	v_pk_add_f16 v42, v17, v18
	v_mul_f16_sdwa v62, v41, s19 dst_sel:DWORD dst_unused:UNUSED_PAD src0_sel:WORD_1 src1_sel:DWORD
	v_fma_f16 v26, v42, s8, v62
	v_lshrrev_b32_e32 v50, 16, v42
	v_mul_f16_e32 v66, 0xba95, v41
	s_movk_i32 s24, 0x33a8
	v_add_f16_e32 v6, v26, v6
	v_fma_f16 v26, v50, s6, -v66
	v_mul_f16_sdwa v68, v41, s24 dst_sel:DWORD dst_unused:UNUSED_PAD src0_sel:WORD_1 src1_sel:DWORD
	v_add_f16_e32 v26, v26, v7
	v_fma_f16 v7, v42, s14, v68
	v_mul_f16_e32 v71, 0x33a8, v41
	v_pk_add_f16 v43, v19, v16 neg_lo:[0,1] neg_hi:[0,1]
	s_mov_b32 s0, 0x388b2fb7
	v_add_f16_e32 v7, v7, v25
	v_fma_f16 v25, v50, s14, -v71
	v_pk_add_f16 v45, v16, v19
	v_mul_f16_sdwa v65, v43, s17 dst_sel:DWORD dst_unused:UNUSED_PAD src0_sel:WORD_1 src1_sel:DWORD
	s_mov_b32 s1, 0xbbf1ba95
	s_mov_b32 s4, 0xb5acbbc4
	v_pk_mul_f16 v27, v30, s0
	v_add_f16_e32 v25, v25, v24
	v_fma_f16 v24, v45, s18, v65
	s_mov_b32 s5, 0xb3a8bb7b
	s_mov_b32 s21, 0xbbc4b5ac
	v_pk_fma_f16 v69, v29, s1, v27 op_sel:[0,0,1] op_sel_hi:[1,1,0]
	v_pk_mul_f16 v78, v33, s4
	v_add_f16_e32 v24, v24, v6
	s_mov_b32 s23, 0x3b7bb3a8
	s_mov_b32 s25, 0xb9fd3b15
	v_pk_fma_f16 v70, v31, s5, v78 op_sel:[0,0,1] op_sel_hi:[1,1,0]
	v_add_f16_sdwa v6, v34, v69 dst_sel:DWORD dst_unused:UNUSED_PAD src0_sel:DWORD src1_sel:WORD_1
	v_pk_mul_f16 v79, v36, s21
	s_mov_b32 s26, 0x3770394e
	s_mov_b32 s27, 0x2fb7388b
	v_add_f16_sdwa v6, v70, v6 dst_sel:DWORD dst_unused:UNUSED_PAD src0_sel:WORD_1 src1_sel:DWORD
	v_pk_fma_f16 v72, v35, s23, v79 op_sel:[0,0,1] op_sel_hi:[1,1,0]
	v_pk_mul_f16 v80, v39, s25
	s_mov_b32 s28, 0xba953bf1
	s_mov_b32 s29, 0x3b15b9fd
	v_add_f16_sdwa v6, v72, v6 dst_sel:DWORD dst_unused:UNUSED_PAD src0_sel:WORD_1 src1_sel:DWORD
	v_pk_fma_f16 v73, v38, s26, v80 op_sel:[0,0,1] op_sel_hi:[1,1,0]
	v_pk_mul_f16 v81, v42, s27
	s_movk_i32 s21, 0x3a95
	s_mov_b32 s30, 0xb94e3770
	v_add_f16_sdwa v6, v73, v6 dst_sel:DWORD dst_unused:UNUSED_PAD src0_sel:WORD_1 src1_sel:DWORD
	v_pk_fma_f16 v74, v41, s28, v81 op_sel:[0,0,1] op_sel_hi:[1,1,0]
	v_mul_f16_sdwa v83, v43, s21 dst_sel:DWORD dst_unused:UNUSED_PAD src0_sel:WORD_1 src1_sel:DWORD
	v_pk_mul_f16 v82, v45, s29
	v_add_f16_sdwa v61, v74, v6 dst_sel:DWORD dst_unused:UNUSED_PAD src0_sel:WORD_1 src1_sel:DWORD
	v_fma_f16 v6, v45, s6, v83
	v_pk_fma_f16 v75, v43, s30, v82 op_sel:[0,0,1] op_sel_hi:[1,1,0]
	v_add_f16_e32 v6, v6, v7
	v_add_f16_sdwa v7, v75, v61 dst_sel:DWORD dst_unused:UNUSED_PAD src0_sel:WORD_1 src1_sel:DWORD
	v_lshrrev_b32_e32 v61, 16, v45
	v_mul_f16_e32 v76, 0xb94e, v43
	v_fma_f16 v77, v61, s15, -v76
	v_mul_f16_e32 v84, 0x3a95, v43
	v_add_f16_e32 v26, v77, v26
	v_fma_f16 v77, v61, s6, -v84
	v_add_f16_e32 v25, v77, v25
	v_pk_fma_f16 v77, v29, s1, v27 op_sel:[0,0,1] op_sel_hi:[1,1,0] neg_lo:[1,0,0] neg_hi:[1,0,0]
	v_pk_fma_f16 v78, v31, s5, v78 op_sel:[0,0,1] op_sel_hi:[1,1,0] neg_lo:[1,0,0] neg_hi:[1,0,0]
	v_add_f16_sdwa v27, v34, v77 dst_sel:DWORD dst_unused:UNUSED_PAD src0_sel:WORD_1 src1_sel:DWORD
	v_pk_fma_f16 v79, v35, s23, v79 op_sel:[0,0,1] op_sel_hi:[1,1,0] neg_lo:[1,0,0] neg_hi:[1,0,0]
	v_add_f16_e32 v27, v78, v27
	v_pk_fma_f16 v80, v38, s26, v80 op_sel:[0,0,1] op_sel_hi:[1,1,0] neg_lo:[1,0,0] neg_hi:[1,0,0]
	v_add_f16_e32 v27, v79, v27
	v_pk_fma_f16 v81, v41, s28, v81 op_sel:[0,0,1] op_sel_hi:[1,1,0] neg_lo:[1,0,0] neg_hi:[1,0,0]
	v_add_f16_e32 v27, v80, v27
	v_pk_fma_f16 v82, v43, s30, v82 op_sel:[0,0,1] op_sel_hi:[1,1,0] neg_lo:[1,0,0] neg_hi:[1,0,0]
	v_add_f16_e32 v27, v81, v27
	v_add_f16_e32 v27, v82, v27
	s_mov_b32 s23, 0xb94e
	v_cmp_gt_u32_e64 s[0:1], 30, v5
	s_barrier
	s_and_saveexec_b64 s[4:5], s[0:1]
	s_cbranch_execz .LBB0_14
; %bb.13:
	v_mul_f16_e32 v86, 0x388b, v30
	v_mul_f16_e32 v90, 0xb5ac, v33
	v_sub_f16_e32 v46, v86, v46
	v_mul_f16_e32 v94, 0xbbc4, v36
	v_add_f16_e32 v46, v34, v46
	v_sub_f16_e32 v48, v90, v48
	v_mul_f16_e32 v98, 0xb9fd, v39
	v_add_f16_e32 v46, v48, v46
	;; [unrolled: 3-line block ×4, first 2 shown]
	v_sub_f16_e32 v48, v102, v62
	v_add_f16_e32 v46, v48, v46
	v_sub_f16_e32 v48, v106, v65
	v_add_f16_e32 v46, v48, v46
	v_mul_f16_e32 v48, 0xb770, v29
	v_mul_f16_e32 v89, 0xb5ac, v37
	v_fma_f16 v53, v37, s18, v48
	v_mul_f16_e32 v55, 0xba95, v31
	v_mul_f16_e32 v88, 0xb5ac, v30
	;; [unrolled: 1-line block ×3, first 2 shown]
	v_add_f16_e32 v57, v57, v89
	v_add_f16_sdwa v53, v34, v53 dst_sel:DWORD dst_unused:UNUSED_PAD src0_sel:WORD_1 src1_sel:DWORD
	v_fma_f16 v62, v40, s6, v55
	v_mul_f16_e32 v87, 0x2fb7, v37
	v_mul_f16_e32 v92, 0xb9fd, v33
	;; [unrolled: 1-line block ×3, first 2 shown]
	v_add_f16_sdwa v57, v34, v57 dst_sel:DWORD dst_unused:UNUSED_PAD src0_sel:WORD_1 src1_sel:DWORD
	v_add_f16_e32 v58, v58, v93
	v_sub_f16_e32 v51, v88, v51
	v_add_f16_e32 v53, v62, v53
	v_mul_f16_e32 v62, 0xbbf1, v35
	v_mul_f16_e32 v91, 0xbbc4, v40
	;; [unrolled: 1-line block ×3, first 2 shown]
	v_add_f16_e32 v57, v58, v57
	v_add_f16_e32 v58, v63, v97
	v_add_f16_e32 v51, v34, v51
	v_sub_f16_e32 v54, v92, v54
	v_add_f16_e32 v49, v49, v87
	v_fma_f16 v63, v44, s8, v62
	v_mul_f16_e32 v95, 0xb5ac, v44
	v_mul_f16_e32 v100, 0x2fb7, v39
	v_add_f16_e32 v51, v54, v51
	v_sub_f16_e32 v54, v96, v59
	v_add_f16_sdwa v49, v34, v49 dst_sel:DWORD dst_unused:UNUSED_PAD src0_sel:WORD_1 src1_sel:DWORD
	v_add_f16_e32 v52, v52, v91
	v_add_f16_e32 v53, v63, v53
	v_mul_f16_e32 v63, 0xbb7b, v38
	v_mul_f16_e32 v99, 0x3b15, v47
	;; [unrolled: 1-line block ×3, first 2 shown]
	v_add_f16_e32 v51, v54, v51
	v_sub_f16_e32 v54, v100, v64
	v_add_f16_e32 v49, v52, v49
	v_add_f16_e32 v52, v56, v95
	v_fma_f16 v64, v47, s9, v63
	v_mul_f16_e32 v103, 0x388b, v50
	v_mul_f16_e32 v104, 0xbbc4, v42
	;; [unrolled: 1-line block ×3, first 2 shown]
	v_add_f16_e32 v57, v58, v57
	v_add_f16_e32 v58, v67, v101
	;; [unrolled: 1-line block ×5, first 2 shown]
	v_mul_f16_e32 v64, 0xb94e, v41
	v_mul_f16_e32 v107, 0xb9fd, v61
	;; [unrolled: 1-line block ×4, first 2 shown]
	v_add_f16_e32 v57, v58, v57
	v_add_f16_e32 v58, v71, v105
	;; [unrolled: 1-line block ×3, first 2 shown]
	v_sub_f16_e32 v54, v104, v68
	v_add_f16_e32 v49, v52, v49
	v_add_f16_e32 v52, v66, v103
	v_fma_f16 v65, v50, s15, v64
	v_add_f16_e32 v57, v58, v57
	v_add_f16_e32 v58, v84, v109
	;; [unrolled: 1-line block ×3, first 2 shown]
	v_sub_f16_e32 v54, v108, v83
	v_add_f16_e32 v49, v52, v49
	v_add_f16_e32 v52, v76, v107
	s_mov_b32 s0, 0xffff
	v_add_f16_e32 v53, v65, v53
	v_mul_f16_e32 v65, 0xb3a8, v43
	v_add_f16_e32 v57, v58, v57
	v_add_f16_e32 v51, v54, v51
	;; [unrolled: 1-line block ×3, first 2 shown]
	v_bfi_b32 v52, s0, v69, v77
	v_bfi_b32 v54, s0, v70, v78
	;; [unrolled: 1-line block ×6, first 2 shown]
	s_mov_b32 s0, 0xb770
	v_fma_f16 v66, v61, s14, v65
	v_add_f16_e32 v53, v66, v53
	v_mul_f16_sdwa v66, v29, s0 dst_sel:DWORD dst_unused:UNUSED_PAD src0_sel:WORD_1 src1_sel:DWORD
	v_fma_f16 v67, v30, s18, -v66
	v_mul_f16_sdwa v68, v31, s20 dst_sel:DWORD dst_unused:UNUSED_PAD src0_sel:WORD_1 src1_sel:DWORD
	v_add_f16_e32 v67, v34, v67
	v_fma_f16 v69, v33, s6, -v68
	v_add_f16_e32 v67, v69, v67
	v_mul_f16_sdwa v69, v35, s22 dst_sel:DWORD dst_unused:UNUSED_PAD src0_sel:WORD_1 src1_sel:DWORD
	v_fma_f16 v70, v36, s8, -v69
	v_mul_f16_e32 v110, 0xb94e, v29
	v_add_f16_e32 v67, v70, v67
	v_mul_f16_sdwa v70, v38, s7 dst_sel:DWORD dst_unused:UNUSED_PAD src0_sel:WORD_1 src1_sel:DWORD
	v_fma_f16 v111, v37, s15, v110
	v_mul_f16_e32 v112, 0x3bf1, v31
	v_fma_f16 v71, v39, s9, -v70
	v_add_f16_sdwa v111, v34, v111 dst_sel:DWORD dst_unused:UNUSED_PAD src0_sel:WORD_1 src1_sel:DWORD
	v_fma_f16 v113, v40, s8, v112
	v_add_f16_e32 v67, v71, v67
	v_mul_f16_sdwa v71, v41, s23 dst_sel:DWORD dst_unused:UNUSED_PAD src0_sel:WORD_1 src1_sel:DWORD
	v_add_f16_e32 v111, v113, v111
	v_mul_f16_e32 v113, 0xba95, v35
	v_fma_f16 v72, v42, s15, -v71
	v_fma_f16 v114, v44, s6, v113
	v_add_f16_e32 v67, v72, v67
	v_mul_f16_sdwa v72, v43, s16 dst_sel:DWORD dst_unused:UNUSED_PAD src0_sel:WORD_1 src1_sel:DWORD
	v_add_f16_e32 v111, v114, v111
	v_mul_f16_e32 v114, 0x33a8, v38
	v_fma_f16 v73, v45, s14, -v72
	v_fma_f16 v115, v47, s14, v114
	v_add_f16_e32 v67, v73, v67
	v_fma_f16 v73, v37, s15, -v110
	v_fma_f16 v37, v37, s18, -v48
	v_add_f16_e32 v111, v115, v111
	v_mul_f16_e32 v115, 0x3770, v41
	v_add_f16_sdwa v73, v34, v73 dst_sel:DWORD dst_unused:UNUSED_PAD src0_sel:WORD_1 src1_sel:DWORD
	v_fma_f16 v74, v40, s8, -v112
	v_add_f16_sdwa v37, v34, v37 dst_sel:DWORD dst_unused:UNUSED_PAD src0_sel:WORD_1 src1_sel:DWORD
	v_fma_f16 v40, v40, s6, -v55
	v_fma_f16 v116, v50, s18, v115
	v_pk_add_f16 v10, v34, v10
	v_add_f16_e32 v73, v74, v73
	v_fma_f16 v74, v44, s6, -v113
	v_add_f16_e32 v37, v40, v37
	v_fma_f16 v40, v44, s8, -v62
	v_add_f16_e32 v111, v116, v111
	v_mul_f16_e32 v116, 0xbb7b, v43
	v_add_f16_e32 v73, v74, v73
	v_fma_f16 v74, v47, s14, -v114
	v_add_f16_e32 v37, v40, v37
	v_fma_f16 v40, v47, s9, -v63
	v_pk_add_f16 v10, v10, v11
	v_fma_f16 v117, v61, s9, v116
	v_add_f16_e32 v73, v74, v73
	v_fma_f16 v74, v50, s18, -v115
	v_add_f16_e32 v37, v40, v37
	v_fma_f16 v40, v50, s15, -v64
	v_pk_add_f16 v10, v10, v14
	v_add_f16_e32 v111, v117, v111
	v_mul_f16_sdwa v117, v29, s23 dst_sel:DWORD dst_unused:UNUSED_PAD src0_sel:WORD_1 src1_sel:DWORD
	v_add_f16_e32 v73, v74, v73
	v_fma_f16 v74, v61, s9, -v116
	v_add_f16_e32 v37, v40, v37
	v_fma_f16 v40, v61, s14, -v65
	v_pk_add_f16 v10, v10, v15
	v_fma_f16 v118, v30, s15, -v117
	v_add_f16_e32 v73, v74, v73
	v_fma_f16 v74, v30, s15, v117
	v_add_f16_e32 v37, v40, v37
	v_fma_f16 v40, v30, s18, v66
	v_pk_add_f16 v10, v10, v18
	v_alignbit_b32 v85, v34, v34, 16
	v_add_f16_e32 v118, v34, v118
	v_add_f16_e32 v74, v34, v74
	;; [unrolled: 1-line block ×3, first 2 shown]
	v_fma_f16 v40, v33, s6, v68
	v_pk_add_f16 v10, v10, v19
	v_add_f16_e32 v34, v40, v34
	v_fma_f16 v40, v36, s8, v69
	v_pk_add_f16 v10, v10, v16
	v_add_f16_e32 v34, v40, v34
	v_fma_f16 v40, v39, s9, v70
	v_pk_add_f16 v10, v10, v17
	v_mul_f16_sdwa v119, v31, s19 dst_sel:DWORD dst_unused:UNUSED_PAD src0_sel:WORD_1 src1_sel:DWORD
	v_add_f16_e32 v34, v40, v34
	v_fma_f16 v40, v42, s15, v71
	v_pk_add_f16 v10, v10, v12
	v_fma_f16 v120, v33, s8, -v119
	v_add_f16_e32 v34, v40, v34
	v_fma_f16 v40, v45, s14, v72
	v_pk_add_f16 v10, v10, v13
	v_add_f16_e32 v118, v120, v118
	v_mul_f16_sdwa v120, v35, s20 dst_sel:DWORD dst_unused:UNUSED_PAD src0_sel:WORD_1 src1_sel:DWORD
	v_add_f16_e32 v34, v40, v34
	v_mul_u32_u24_e32 v40, 48, v5
	v_pk_add_f16 v8, v10, v8
	v_fma_f16 v121, v36, s6, -v120
	v_add3_u32 v32, v32, v40, v23
	v_pk_add_f16 v8, v8, v9
	v_pack_b32_f16 v9, v67, v53
	v_add_f16_e32 v118, v121, v118
	v_mul_f16_sdwa v121, v38, s24 dst_sel:DWORD dst_unused:UNUSED_PAD src0_sel:WORD_1 src1_sel:DWORD
	ds_write2_b32 v32, v8, v9 offset1:1
	v_pk_add_f16 v8, v85, v52
	v_fma_f16 v122, v39, s14, -v121
	v_pk_add_f16 v8, v54, v8
	v_add_f16_e32 v118, v122, v118
	v_mul_f16_sdwa v122, v41, s17 dst_sel:DWORD dst_unused:UNUSED_PAD src0_sel:WORD_1 src1_sel:DWORD
	v_pk_add_f16 v8, v56, v8
	v_fma_f16 v123, v42, s18, -v122
	v_pk_add_f16 v8, v58, v8
	v_add_f16_e32 v118, v123, v118
	v_mul_f16_sdwa v123, v43, s7 dst_sel:DWORD dst_unused:UNUSED_PAD src0_sel:WORD_1 src1_sel:DWORD
	v_pk_add_f16 v8, v59, v8
	v_fma_f16 v124, v45, s9, -v123
	v_pk_add_f16 v8, v60, v8
	v_add_f16_e32 v118, v124, v118
	v_alignbit_b32 v9, v49, v8, 16
	v_pack_b32_f16 v8, v46, v8
	ds_write2_b32 v32, v8, v9 offset0:2 offset1:3
	v_pack_b32_f16 v8, v51, v57
	v_pack_b32_f16 v9, v118, v111
	ds_write2_b32 v32, v8, v9 offset0:4 offset1:5
	v_pk_mul_f16 v8, v30, s14 op_sel_hi:[1,0]
	v_pk_fma_f16 v9, v29, s16, v8 op_sel:[0,0,1] op_sel_hi:[1,0,0] neg_lo:[1,0,0] neg_hi:[1,0,0]
	v_pk_mul_f16 v10, v33, s18 op_sel_hi:[1,0]
	v_pk_add_f16 v9, v85, v9
	v_pk_fma_f16 v11, v31, s17, v10 op_sel:[0,0,1] op_sel_hi:[1,0,0] neg_lo:[1,0,0] neg_hi:[1,0,0]
	v_pk_add_f16 v9, v11, v9
	v_pk_mul_f16 v11, v36, s15 op_sel_hi:[1,0]
	v_pk_fma_f16 v12, v35, s23, v11 op_sel:[0,0,1] op_sel_hi:[1,0,0] neg_lo:[1,0,0] neg_hi:[1,0,0]
	v_pk_add_f16 v9, v12, v9
	v_pk_mul_f16 v12, v39, s6 op_sel_hi:[1,0]
	v_pk_fma_f16 v8, v29, s16, v8 op_sel:[0,0,1] op_sel_hi:[1,0,0]
	v_pk_fma_f16 v13, v38, s21, v12 op_sel:[0,0,1] op_sel_hi:[1,0,0] neg_lo:[1,0,0] neg_hi:[1,0,0]
	v_pk_add_f16 v8, v85, v8
	v_pk_fma_f16 v10, v31, s17, v10 op_sel:[0,0,1] op_sel_hi:[1,0,0]
	v_fma_f16 v75, v33, s8, v119
	v_pk_add_f16 v9, v13, v9
	v_pk_mul_f16 v13, v42, s9 op_sel_hi:[1,0]
	v_pk_add_f16 v8, v10, v8
	v_pk_fma_f16 v10, v35, s23, v11 op_sel:[0,0,1] op_sel_hi:[1,0,0]
	v_add_f16_e32 v74, v75, v74
	v_fma_f16 v75, v36, s6, v120
	v_pk_fma_f16 v14, v41, s7, v13 op_sel:[0,0,1] op_sel_hi:[1,0,0] neg_lo:[1,0,0] neg_hi:[1,0,0]
	v_pk_add_f16 v8, v10, v8
	v_pk_fma_f16 v10, v38, s21, v12 op_sel:[0,0,1] op_sel_hi:[1,0,0]
	v_add_f16_e32 v74, v75, v74
	v_fma_f16 v75, v39, s14, v121
	v_pk_add_f16 v9, v14, v9
	v_pk_mul_f16 v14, v45, s8 op_sel_hi:[1,0]
	v_pk_add_f16 v8, v10, v8
	v_pk_fma_f16 v10, v41, s7, v13 op_sel:[0,0,1] op_sel_hi:[1,0,0]
	v_add_f16_e32 v74, v75, v74
	v_fma_f16 v75, v42, s18, v122
	v_pk_fma_f16 v15, v43, s19, v14 op_sel:[0,0,1] op_sel_hi:[1,0,0] neg_lo:[1,0,0] neg_hi:[1,0,0]
	v_pk_add_f16 v8, v10, v8
	v_pk_fma_f16 v10, v43, s19, v14 op_sel:[0,0,1] op_sel_hi:[1,0,0]
	v_add_f16_e32 v74, v75, v74
	v_fma_f16 v75, v45, s9, v123
	v_pk_add_f16 v9, v15, v9
	v_pk_add_f16 v8, v10, v8
	v_add_f16_e32 v74, v75, v74
	v_alignbit_b32 v10, v9, v8, 16
	v_alignbit_b32 v8, v8, v9, 16
	s_mov_b32 s0, 0x5040100
	ds_write2_b32 v32, v8, v10 offset0:6 offset1:7
	v_pack_b32_f16 v8, v74, v73
	v_perm_b32 v9, v25, v6, s0
	ds_write2_b32 v32, v8, v9 offset0:8 offset1:9
	v_perm_b32 v8, v27, v24, s0
	v_perm_b32 v9, v26, v7, s0
	ds_write2_b32 v32, v9, v8 offset0:10 offset1:11
	v_pack_b32_f16 v8, v34, v37
	ds_write_b32 v32, v8 offset:48
.LBB0_14:
	s_or_b64 exec, exec, s[4:5]
	v_add_u32_e32 v8, 0x200, v22
	s_waitcnt lgkmcnt(0)
	s_barrier
	ds_read_b32 v16, v20
	ds_read2_b32 v[10:11], v22 offset0:130 offset1:169
	ds_read2_b32 v[12:13], v8 offset0:80 offset1:132
	;; [unrolled: 1-line block ×4, first 2 shown]
	v_cmp_gt_u32_e64 s[0:1], 13, v5
	s_and_saveexec_b64 s[4:5], s[0:1]
	s_cbranch_execz .LBB0_16
; %bb.15:
	ds_read2_b32 v[6:7], v22 offset0:117 offset1:247
	ds_read_b32 v24, v22 offset:1508
	s_waitcnt lgkmcnt(1)
	v_lshrrev_b32_e32 v25, 16, v6
	s_waitcnt lgkmcnt(0)
	v_lshrrev_b32_e32 v27, 16, v24
	v_lshrrev_b32_e32 v26, 16, v7
.LBB0_16:
	s_or_b64 exec, exec, s[4:5]
	s_movk_i32 s6, 0x4f
	v_add_u16_e32 v19, 39, v5
	v_mul_lo_u16_sdwa v17, v5, s6 dst_sel:DWORD dst_unused:UNUSED_PAD src0_sel:BYTE_0 src1_sel:DWORD
	v_mul_lo_u16_sdwa v28, v19, s6 dst_sel:DWORD dst_unused:UNUSED_PAD src0_sel:BYTE_0 src1_sel:DWORD
	v_add_u16_e32 v30, 0x4e, v5
	v_lshrrev_b16_e32 v32, 10, v17
	v_lshrrev_b16_e32 v34, 10, v28
	v_mul_lo_u16_sdwa v29, v30, s6 dst_sel:DWORD dst_unused:UNUSED_PAD src0_sel:BYTE_0 src1_sel:DWORD
	v_mul_lo_u16_e32 v17, 13, v32
	v_mul_lo_u16_e32 v28, 13, v34
	v_lshrrev_b16_e32 v36, 10, v29
	v_sub_u16_e32 v33, v5, v17
	v_mov_b32_e32 v17, 3
	v_sub_u16_e32 v35, v19, v28
	v_mul_lo_u16_e32 v31, 13, v36
	v_lshlrev_b32_sdwa v18, v17, v33 dst_sel:DWORD dst_unused:UNUSED_PAD src0_sel:DWORD src1_sel:BYTE_0
	v_lshlrev_b32_sdwa v28, v17, v35 dst_sel:DWORD dst_unused:UNUSED_PAD src0_sel:DWORD src1_sel:BYTE_0
	v_sub_u16_e32 v37, v30, v31
	global_load_dwordx2 v[18:19], v18, s[12:13]
	v_lshlrev_b32_sdwa v30, v17, v37 dst_sel:DWORD dst_unused:UNUSED_PAD src0_sel:DWORD src1_sel:BYTE_0
	global_load_dwordx2 v[28:29], v28, s[12:13]
	s_waitcnt lgkmcnt(3)
	v_lshrrev_b32_e32 v41, 16, v10
	global_load_dwordx2 v[30:31], v30, s[12:13]
	s_waitcnt lgkmcnt(2)
	v_lshrrev_b32_e32 v42, 16, v13
	v_lshrrev_b32_e32 v43, 16, v11
	s_waitcnt lgkmcnt(0)
	v_lshrrev_b32_e32 v44, 16, v14
	v_lshrrev_b32_e32 v46, 16, v15
	;; [unrolled: 1-line block ×6, first 2 shown]
	s_movk_i32 s7, 0x3aee
	s_mov_b32 s8, 0xbaee
	s_movk_i32 s4, 0x9c
	s_load_dwordx2 s[2:3], s[2:3], 0x0
	s_waitcnt vmcnt(0) lgkmcnt(0)
	s_barrier
	v_mul_f16_sdwa v47, v18, v41 dst_sel:DWORD dst_unused:UNUSED_PAD src0_sel:WORD_1 src1_sel:DWORD
	v_mul_f16_sdwa v48, v18, v10 dst_sel:DWORD dst_unused:UNUSED_PAD src0_sel:WORD_1 src1_sel:DWORD
	;; [unrolled: 1-line block ×10, first 2 shown]
	v_fma_f16 v10, v18, v10, -v47
	v_fma_f16 v18, v18, v41, v48
	v_fma_f16 v13, v19, v13, -v49
	v_fma_f16 v19, v19, v42, v50
	v_fma_f16 v11, v28, v11, -v51
	v_fma_f16 v14, v29, v14, -v53
	v_mul_f16_sdwa v55, v30, v45 dst_sel:DWORD dst_unused:UNUSED_PAD src0_sel:WORD_1 src1_sel:DWORD
	v_mul_f16_sdwa v56, v30, v12 dst_sel:DWORD dst_unused:UNUSED_PAD src0_sel:WORD_1 src1_sel:DWORD
	v_fma_f16 v28, v28, v43, v52
	v_fma_f16 v29, v29, v44, v54
	v_fma_f16 v15, v31, v15, -v57
	v_fma_f16 v31, v31, v46, v58
	v_sub_f16_e32 v43, v18, v19
	v_add_f16_e32 v44, v38, v18
	v_add_f16_e32 v18, v18, v19
	;; [unrolled: 1-line block ×3, first 2 shown]
	v_fma_f16 v12, v30, v12, -v55
	v_fma_f16 v30, v30, v45, v56
	v_add_f16_e32 v41, v16, v10
	v_add_f16_e32 v42, v10, v13
	v_sub_f16_e32 v10, v10, v13
	v_add_f16_e32 v45, v8, v11
	v_sub_f16_e32 v47, v28, v29
	v_fma_f16 v18, v18, -0.5, v38
	v_fma_f16 v8, v46, -0.5, v8
	v_add_f16_e32 v13, v41, v13
	v_fma_f16 v16, v42, -0.5, v16
	v_fma_f16 v41, v10, s8, v18
	v_fma_f16 v10, v10, s7, v18
	;; [unrolled: 1-line block ×4, first 2 shown]
	v_add_f16_e32 v8, v40, v30
	v_add_f16_e32 v19, v44, v19
	;; [unrolled: 1-line block ×6, first 2 shown]
	v_fma_f16 v8, v8, -0.5, v40
	v_sub_f16_e32 v12, v12, v15
	v_add_f16_e32 v48, v39, v28
	v_add_f16_e32 v28, v28, v29
	;; [unrolled: 1-line block ×3, first 2 shown]
	v_fma_f16 v15, v12, s8, v8
	v_fma_f16 v12, v12, s7, v8
	v_mov_b32_e32 v8, 2
	v_sub_f16_e32 v51, v30, v31
	v_fma_f16 v28, v28, -0.5, v39
	v_fma_f16 v39, v43, s7, v16
	v_fma_f16 v16, v43, s8, v16
	v_mad_u32_u24 v30, v32, s4, 0
	v_lshlrev_b32_sdwa v31, v8, v33 dst_sel:DWORD dst_unused:UNUSED_PAD src0_sel:DWORD src1_sel:BYTE_0
	v_sub_f16_e32 v11, v11, v14
	v_add3_u32 v30, v30, v31, v23
	v_pack_b32_f16 v13, v13, v19
	v_pack_b32_f16 v19, v39, v41
	;; [unrolled: 1-line block ×3, first 2 shown]
	v_add_f16_e32 v14, v45, v14
	v_add_f16_e32 v29, v48, v29
	v_fma_f16 v43, v11, s8, v28
	v_fma_f16 v11, v11, s7, v28
	ds_write2_b32 v30, v13, v19 offset1:13
	ds_write_b32 v30, v10 offset:104
	v_mad_u32_u24 v10, v34, s4, 0
	v_lshlrev_b32_sdwa v13, v8, v35 dst_sel:DWORD dst_unused:UNUSED_PAD src0_sel:DWORD src1_sel:BYTE_0
	v_fma_f16 v9, v50, -0.5, v9
	v_add3_u32 v10, v10, v13, v23
	v_pack_b32_f16 v13, v14, v29
	v_pack_b32_f16 v14, v18, v43
	;; [unrolled: 1-line block ×3, first 2 shown]
	v_fma_f16 v28, v51, s7, v9
	v_fma_f16 v9, v51, s8, v9
	ds_write2_b32 v10, v13, v14 offset1:13
	ds_write_b32 v10, v11 offset:104
	v_mad_u32_u24 v10, v36, s4, 0
	v_lshlrev_b32_sdwa v11, v8, v37 dst_sel:DWORD dst_unused:UNUSED_PAD src0_sel:DWORD src1_sel:BYTE_0
	v_add3_u32 v10, v10, v11, v23
	v_pack_b32_f16 v11, v38, v44
	v_pack_b32_f16 v13, v28, v15
	;; [unrolled: 1-line block ×3, first 2 shown]
	ds_write2_b32 v10, v11, v13 offset1:13
	ds_write_b32 v10, v9 offset:104
	s_and_saveexec_b64 s[4:5], s[0:1]
	s_cbranch_execz .LBB0_18
; %bb.17:
	v_add_u16_e32 v9, 0x75, v5
	v_mul_lo_u16_sdwa v10, v9, s6 dst_sel:DWORD dst_unused:UNUSED_PAD src0_sel:BYTE_0 src1_sel:DWORD
	v_lshrrev_b16_e32 v10, 10, v10
	v_mul_lo_u16_e32 v10, 13, v10
	v_sub_u16_e32 v11, v9, v10
	v_lshlrev_b32_sdwa v9, v17, v11 dst_sel:DWORD dst_unused:UNUSED_PAD src0_sel:DWORD src1_sel:BYTE_0
	global_load_dwordx2 v[9:10], v9, s[12:13]
	v_lshlrev_b32_sdwa v8, v8, v11 dst_sel:DWORD dst_unused:UNUSED_PAD src0_sel:DWORD src1_sel:BYTE_0
	v_add3_u32 v8, 0, v8, v23
	v_add_u32_e32 v11, 0x400, v8
	s_waitcnt vmcnt(0)
	v_mul_f16_sdwa v12, v26, v9 dst_sel:DWORD dst_unused:UNUSED_PAD src0_sel:DWORD src1_sel:WORD_1
	v_mul_f16_sdwa v13, v27, v10 dst_sel:DWORD dst_unused:UNUSED_PAD src0_sel:DWORD src1_sel:WORD_1
	;; [unrolled: 1-line block ×4, first 2 shown]
	v_fma_f16 v7, v7, v9, -v12
	v_fma_f16 v12, v24, v10, -v13
	v_fma_f16 v9, v26, v9, v14
	v_fma_f16 v10, v27, v10, v15
	v_add_f16_e32 v14, v9, v10
	v_add_f16_e32 v16, v7, v12
	v_sub_f16_e32 v13, v7, v12
	v_add_f16_e32 v15, v25, v9
	v_sub_f16_e32 v9, v9, v10
	v_add_f16_e32 v7, v6, v7
	v_fma_f16 v14, v14, -0.5, v25
	v_fma_f16 v6, v16, -0.5, v6
	v_add_f16_e32 v10, v15, v10
	v_add_f16_e32 v7, v7, v12
	v_fma_f16 v12, v13, s7, v14
	v_fma_f16 v13, v13, s8, v14
	;; [unrolled: 1-line block ×4, first 2 shown]
	v_pack_b32_f16 v7, v7, v10
	v_pack_b32_f16 v6, v6, v13
	;; [unrolled: 1-line block ×3, first 2 shown]
	ds_write2_b32 v11, v7, v6 offset0:95 offset1:108
	ds_write_b32 v8, v9 offset:1508
.LBB0_18:
	s_or_b64 exec, exec, s[4:5]
	v_mul_u32_u24_e32 v6, 9, v5
	v_lshlrev_b32_e32 v14, 2, v6
	s_waitcnt lgkmcnt(0)
	s_barrier
	global_load_dwordx4 v[6:9], v14, s[12:13] offset:104
	global_load_dwordx4 v[10:13], v14, s[12:13] offset:120
	global_load_dword v25, v14, s[12:13] offset:136
	ds_read2_b32 v[14:15], v22 offset0:39 offset1:78
	ds_read2_b32 v[16:17], v22 offset0:117 offset1:156
	;; [unrolled: 1-line block ×3, first 2 shown]
	v_add_u32_e32 v26, 0x400, v22
	ds_read_b32 v27, v20
	ds_read_b32 v28, v22 offset:1404
	ds_read2_b32 v[23:24], v26 offset0:17 offset1:56
	s_waitcnt lgkmcnt(4)
	v_lshrrev_b32_e32 v35, 16, v17
	s_waitcnt lgkmcnt(3)
	v_lshrrev_b32_e32 v30, 16, v19
	v_lshrrev_b32_e32 v33, 16, v15
	s_waitcnt lgkmcnt(1)
	v_lshrrev_b32_e32 v31, 16, v28
	s_waitcnt lgkmcnt(0)
	v_lshrrev_b32_e32 v38, 16, v24
	v_lshrrev_b32_e32 v32, 16, v14
	;; [unrolled: 1-line block ×4, first 2 shown]
	s_movk_i32 s0, 0x3b9c
	s_mov_b32 s5, 0xbb9c
	s_movk_i32 s1, 0x38b4
	s_mov_b32 s6, 0xb8b4
	v_lshrrev_b32_e32 v29, 16, v27
	v_lshrrev_b32_e32 v37, 16, v23
	s_movk_i32 s4, 0x34f2
	s_movk_i32 s7, 0x3a79
	s_waitcnt vmcnt(0)
	s_barrier
	v_mul_f16_sdwa v45, v9, v35 dst_sel:DWORD dst_unused:UNUSED_PAD src0_sel:WORD_1 src1_sel:DWORD
	v_mul_f16_sdwa v49, v30, v11 dst_sel:DWORD dst_unused:UNUSED_PAD src0_sel:DWORD src1_sel:WORD_1
	v_mul_f16_sdwa v41, v7, v33 dst_sel:DWORD dst_unused:UNUSED_PAD src0_sel:WORD_1 src1_sel:DWORD
	v_mul_f16_sdwa v42, v7, v15 dst_sel:DWORD dst_unused:UNUSED_PAD src0_sel:WORD_1 src1_sel:DWORD
	;; [unrolled: 1-line block ×3, first 2 shown]
	v_mul_f16_sdwa v50, v19, v11 dst_sel:DWORD dst_unused:UNUSED_PAD src0_sel:DWORD src1_sel:WORD_1
	v_mul_f16_sdwa v53, v38, v13 dst_sel:DWORD dst_unused:UNUSED_PAD src0_sel:DWORD src1_sel:WORD_1
	v_mul_f16_sdwa v54, v24, v13 dst_sel:DWORD dst_unused:UNUSED_PAD src0_sel:DWORD src1_sel:WORD_1
	v_mul_f16_sdwa v55, v31, v25 dst_sel:DWORD dst_unused:UNUSED_PAD src0_sel:DWORD src1_sel:WORD_1
	v_mul_f16_sdwa v56, v28, v25 dst_sel:DWORD dst_unused:UNUSED_PAD src0_sel:DWORD src1_sel:WORD_1
	v_fma_f16 v17, v9, v17, -v45
	v_fma_f16 v19, v19, v11, -v49
	v_mul_f16_sdwa v39, v6, v32 dst_sel:DWORD dst_unused:UNUSED_PAD src0_sel:WORD_1 src1_sel:DWORD
	v_mul_f16_sdwa v40, v6, v14 dst_sel:DWORD dst_unused:UNUSED_PAD src0_sel:WORD_1 src1_sel:DWORD
	;; [unrolled: 1-line block ×6, first 2 shown]
	v_fma_f16 v15, v7, v15, -v41
	v_fma_f16 v7, v7, v33, v42
	v_fma_f16 v24, v24, v13, -v53
	v_fma_f16 v13, v38, v13, v54
	v_fma_f16 v28, v28, v25, -v55
	v_fma_f16 v25, v31, v25, v56
	v_add_f16_e32 v31, v17, v19
	v_fma_f16 v14, v6, v14, -v39
	v_fma_f16 v6, v6, v32, v40
	v_fma_f16 v16, v8, v16, -v43
	v_fma_f16 v8, v8, v34, v44
	v_fma_f16 v9, v9, v35, v46
	v_fma_f16 v18, v10, v18, -v47
	v_fma_f16 v10, v10, v36, v48
	v_fma_f16 v11, v30, v11, v50
	v_sub_f16_e32 v32, v7, v13
	v_sub_f16_e32 v34, v15, v17
	;; [unrolled: 1-line block ×3, first 2 shown]
	v_add_f16_e32 v36, v15, v24
	v_fma_f16 v31, v31, -0.5, v27
	v_add_f16_e32 v30, v27, v15
	v_sub_f16_e32 v33, v9, v11
	v_add_f16_e32 v34, v34, v35
	v_fma_f16 v27, v36, -0.5, v27
	v_fma_f16 v35, v32, s0, v31
	v_fma_f16 v31, v32, s5, v31
	v_mul_f16_sdwa v51, v37, v12 dst_sel:DWORD dst_unused:UNUSED_PAD src0_sel:DWORD src1_sel:WORD_1
	v_mul_f16_sdwa v52, v23, v12 dst_sel:DWORD dst_unused:UNUSED_PAD src0_sel:DWORD src1_sel:WORD_1
	v_add_f16_e32 v30, v30, v17
	v_fma_f16 v36, v33, s5, v27
	v_fma_f16 v35, v33, s1, v35
	;; [unrolled: 1-line block ×4, first 2 shown]
	v_add_f16_e32 v33, v9, v11
	v_fma_f16 v23, v23, v12, -v51
	v_fma_f16 v12, v37, v12, v52
	v_sub_f16_e32 v37, v17, v15
	v_sub_f16_e32 v38, v19, v24
	v_add_f16_e32 v30, v30, v19
	v_fma_f16 v33, v33, -0.5, v29
	v_sub_f16_e32 v15, v15, v24
	v_add_f16_e32 v30, v30, v24
	v_fma_f16 v36, v32, s1, v36
	v_fma_f16 v35, v34, s4, v35
	;; [unrolled: 1-line block ×3, first 2 shown]
	v_add_f16_e32 v34, v37, v38
	v_fma_f16 v27, v32, s6, v27
	v_fma_f16 v24, v15, s5, v33
	v_sub_f16_e32 v17, v17, v19
	v_fma_f16 v36, v34, s4, v36
	v_fma_f16 v27, v34, s4, v27
	;; [unrolled: 1-line block ×3, first 2 shown]
	v_sub_f16_e32 v24, v7, v9
	v_sub_f16_e32 v34, v13, v11
	v_fma_f16 v33, v15, s0, v33
	v_add_f16_e32 v32, v29, v7
	v_add_f16_e32 v24, v24, v34
	v_fma_f16 v33, v17, s1, v33
	v_add_f16_e32 v32, v32, v9
	v_fma_f16 v19, v24, s4, v19
	v_fma_f16 v24, v24, s4, v33
	v_add_f16_e32 v33, v7, v13
	v_add_f16_e32 v32, v32, v11
	v_fma_f16 v29, v33, -0.5, v29
	v_add_f16_e32 v32, v32, v13
	v_fma_f16 v33, v17, s0, v29
	v_sub_f16_e32 v7, v9, v7
	v_sub_f16_e32 v9, v11, v13
	v_fma_f16 v11, v17, s5, v29
	v_add_f16_e32 v13, v18, v23
	v_fma_f16 v33, v15, s6, v33
	v_add_f16_e32 v7, v7, v9
	v_fma_f16 v11, v15, s1, v11
	v_fma_f16 v13, v13, -0.5, v14
	v_sub_f16_e32 v15, v8, v25
	v_fma_f16 v9, v7, s4, v33
	v_fma_f16 v17, v15, s0, v13
	v_sub_f16_e32 v29, v10, v12
	v_sub_f16_e32 v33, v16, v18
	;; [unrolled: 1-line block ×3, first 2 shown]
	v_fma_f16 v13, v15, s5, v13
	v_fma_f16 v17, v29, s1, v17
	v_add_f16_e32 v33, v33, v34
	v_fma_f16 v13, v29, s6, v13
	v_fma_f16 v17, v33, s4, v17
	;; [unrolled: 1-line block ×3, first 2 shown]
	v_add_f16_e32 v33, v16, v28
	v_fma_f16 v7, v7, s4, v11
	v_add_f16_e32 v11, v14, v16
	v_fma_f16 v14, v33, -0.5, v14
	v_add_f16_e32 v11, v11, v18
	v_fma_f16 v33, v29, s5, v14
	v_fma_f16 v14, v29, s0, v14
	v_add_f16_e32 v29, v10, v12
	v_add_f16_e32 v11, v11, v23
	v_sub_f16_e32 v34, v18, v16
	v_sub_f16_e32 v37, v23, v28
	v_fma_f16 v29, v29, -0.5, v6
	v_sub_f16_e32 v16, v16, v28
	v_add_f16_e32 v11, v11, v28
	v_fma_f16 v33, v15, s1, v33
	v_add_f16_e32 v34, v34, v37
	v_fma_f16 v14, v15, s6, v14
	v_fma_f16 v28, v16, s5, v29
	v_sub_f16_e32 v18, v18, v23
	v_fma_f16 v33, v34, s4, v33
	v_fma_f16 v14, v34, s4, v14
	;; [unrolled: 1-line block ×3, first 2 shown]
	v_sub_f16_e32 v28, v8, v10
	v_sub_f16_e32 v34, v25, v12
	v_fma_f16 v29, v16, s0, v29
	v_add_f16_e32 v28, v28, v34
	v_fma_f16 v29, v18, s1, v29
	v_fma_f16 v23, v28, s4, v23
	v_fma_f16 v28, v28, s4, v29
	v_add_f16_e32 v29, v8, v25
	v_add_f16_e32 v15, v6, v8
	v_fma_f16 v6, v29, -0.5, v6
	v_add_f16_e32 v15, v15, v10
	v_fma_f16 v29, v18, s0, v6
	v_sub_f16_e32 v8, v10, v8
	v_sub_f16_e32 v10, v12, v25
	v_fma_f16 v29, v16, s6, v29
	v_add_f16_e32 v8, v8, v10
	v_fma_f16 v6, v18, s5, v6
	v_add_f16_e32 v15, v15, v12
	v_fma_f16 v10, v8, s4, v29
	v_fma_f16 v6, v16, s1, v6
	v_mul_f16_e32 v12, 0x38b4, v23
	v_fma_f16 v6, v8, s4, v6
	v_fma_f16 v12, v17, s7, v12
	v_mul_f16_e32 v18, 0x3b9c, v10
	v_mul_f16_e32 v29, 0x34f2, v14
	;; [unrolled: 1-line block ×3, first 2 shown]
	v_add_f16_e32 v15, v15, v25
	v_fma_f16 v18, v33, s4, v18
	v_fma_f16 v29, v6, s0, -v29
	v_mul_f16_e32 v37, 0x3a79, v13
	v_fma_f16 v17, v23, s7, v17
	v_mul_f16_e32 v33, 0xbb9c, v33
	v_mul_f16_e32 v6, 0x34f2, v6
	v_add_f16_e32 v8, v30, v11
	v_add_f16_e32 v16, v35, v12
	v_fma_f16 v37, v28, s1, -v37
	v_add_f16_e32 v39, v32, v15
	v_add_f16_e32 v23, v19, v17
	v_fma_f16 v10, v10, s4, v33
	v_fma_f16 v6, v14, s5, -v6
	v_mul_f16_e32 v28, 0x3a79, v28
	v_add_f16_e32 v25, v36, v18
	v_add_f16_e32 v34, v27, v29
	;; [unrolled: 1-line block ×4, first 2 shown]
	v_fma_f16 v13, v13, s6, -v28
	v_sub_f16_e32 v9, v9, v10
	v_pack_b32_f16 v8, v8, v39
	v_pack_b32_f16 v10, v16, v23
	v_add_f16_e32 v38, v31, v37
	v_add_f16_e32 v28, v24, v13
	v_sub_f16_e32 v11, v30, v11
	v_sub_f16_e32 v15, v32, v15
	ds_write2_b32 v22, v8, v10 offset1:39
	v_pack_b32_f16 v8, v25, v33
	v_pack_b32_f16 v10, v34, v14
	v_sub_f16_e32 v12, v35, v12
	v_sub_f16_e32 v18, v36, v18
	;; [unrolled: 1-line block ×7, first 2 shown]
	ds_write2_b32 v22, v8, v10 offset0:78 offset1:117
	v_pack_b32_f16 v8, v38, v28
	v_pack_b32_f16 v10, v11, v15
	ds_write2_b32 v22, v8, v10 offset0:156 offset1:195
	v_pack_b32_f16 v8, v12, v17
	v_pack_b32_f16 v9, v18, v9
	v_add_u32_e32 v10, 0x200, v22
	v_pack_b32_f16 v6, v27, v6
	v_pack_b32_f16 v7, v29, v7
	ds_write2_b32 v10, v8, v9 offset0:106 offset1:145
	ds_write2_b32 v26, v6, v7 offset0:56 offset1:95
	s_waitcnt lgkmcnt(0)
	s_barrier
	ds_read_b32 v12, v20
	v_sub_u32_e32 v8, v0, v21
	v_cmp_ne_u32_e64 s[0:1], 0, v5
                                        ; implicit-def: $vgpr10
                                        ; implicit-def: $vgpr9
                                        ; implicit-def: $vgpr11
                                        ; implicit-def: $vgpr6_vgpr7
	s_and_saveexec_b64 s[4:5], s[0:1]
	s_xor_b64 s[4:5], exec, s[4:5]
	s_cbranch_execz .LBB0_20
; %bb.19:
	v_mov_b32_e32 v6, 0
	v_lshlrev_b64 v[9:10], 2, v[5:6]
	v_mov_b32_e32 v7, s13
	v_add_co_u32_e64 v9, s[0:1], s12, v9
	v_addc_co_u32_e64 v10, s[0:1], v7, v10, s[0:1]
	global_load_dword v7, v[9:10], off offset:1508
	ds_read_b32 v9, v8 offset:1560
	s_mov_b32 s0, 0xffff
	s_waitcnt lgkmcnt(0)
	v_pk_add_f16 v10, v12, v9 neg_lo:[0,1] neg_hi:[0,1]
	v_pk_add_f16 v9, v9, v12
	v_bfi_b32 v11, s0, v10, v9
	v_bfi_b32 v9, s0, v9, v10
	v_pk_mul_f16 v10, v11, 0.5 op_sel_hi:[1,0]
	v_pk_mul_f16 v11, v9, 0.5 op_sel_hi:[1,0]
	s_waitcnt vmcnt(0)
	v_pk_mul_f16 v12, v7, v10 op_sel:[1,0]
	v_pk_mul_f16 v7, v7, v10 op_sel_hi:[0,1]
	v_pk_fma_f16 v9, v9, 0.5, v12 op_sel_hi:[1,0,1]
	v_sub_f16_e32 v10, v11, v12
	v_sub_f16_sdwa v11, v12, v11 dst_sel:DWORD dst_unused:UNUSED_PAD src0_sel:WORD_1 src1_sel:WORD_1
	v_pk_add_f16 v12, v9, v7 op_sel:[0,1] op_sel_hi:[1,0]
	v_pk_add_f16 v13, v9, v7 op_sel:[0,1] op_sel_hi:[1,0] neg_lo:[0,1] neg_hi:[0,1]
	v_sub_f16_sdwa v9, v10, v7 dst_sel:DWORD dst_unused:UNUSED_PAD src0_sel:DWORD src1_sel:WORD_1
	v_sub_f16_e32 v11, v11, v7
	v_mov_b32_e32 v7, v6
	v_bfi_b32 v10, s0, v12, v13
	v_mov_b32_e32 v6, v5
                                        ; implicit-def: $vgpr12
.LBB0_20:
	s_andn2_saveexec_b64 s[0:1], s[4:5]
	s_cbranch_execz .LBB0_22
; %bb.21:
	ds_read_u16 v6, v0 offset:782
	s_waitcnt lgkmcnt(1)
	v_alignbit_b32 v7, s0, v12, 16
	v_pk_add_f16 v7, v7, v12
	v_pack_b32_f16 v10, v7, 0
	v_sub_f16_sdwa v9, v12, v12 dst_sel:DWORD dst_unused:UNUSED_PAD src0_sel:DWORD src1_sel:WORD_1
	s_waitcnt lgkmcnt(0)
	v_xor_b32_e32 v6, 0x8000, v6
	ds_write_b16 v0, v6 offset:782
	v_mov_b32_e32 v6, 0
	v_mov_b32_e32 v7, 0
	;; [unrolled: 1-line block ×3, first 2 shown]
.LBB0_22:
	s_or_b64 exec, exec, s[0:1]
	s_add_u32 s0, s12, 0x5e4
	v_lshlrev_b64 v[6:7], 2, v[6:7]
	s_addc_u32 s1, s13, 0
	s_waitcnt lgkmcnt(0)
	v_mov_b32_e32 v12, s1
	v_add_co_u32_e64 v6, s[0:1], s0, v6
	v_addc_co_u32_e64 v7, s[0:1], v12, v7, s[0:1]
	global_load_dword v12, v[6:7], off offset:156
	global_load_dword v13, v[6:7], off offset:312
	;; [unrolled: 1-line block ×3, first 2 shown]
	ds_write_b16 v8, v11 offset:1562
	ds_write_b32 v20, v10
	ds_write_b16 v8, v9 offset:1560
	ds_read_b32 v9, v20 offset:156
	ds_read_b32 v10, v8 offset:1404
	global_load_dword v6, v[6:7], off offset:624
	s_mov_b32 s0, 0xffff
	s_waitcnt lgkmcnt(0)
	v_pk_add_f16 v7, v9, v10 neg_lo:[0,1] neg_hi:[0,1]
	v_pk_add_f16 v9, v9, v10
	v_bfi_b32 v10, s0, v7, v9
	v_bfi_b32 v7, s0, v9, v7
	v_pk_mul_f16 v9, v10, 0.5 op_sel_hi:[1,0]
	v_pk_mul_f16 v10, v7, 0.5 op_sel_hi:[1,0]
	s_waitcnt vmcnt(3)
	v_pk_mul_f16 v11, v12, v9 op_sel:[1,0]
	v_pk_mul_f16 v9, v12, v9 op_sel_hi:[0,1]
	v_pk_fma_f16 v7, v7, 0.5, v11 op_sel_hi:[1,0,1]
	v_sub_f16_e32 v12, v10, v11
	v_sub_f16_sdwa v10, v11, v10 dst_sel:DWORD dst_unused:UNUSED_PAD src0_sel:WORD_1 src1_sel:WORD_1
	v_pk_add_f16 v11, v7, v9 op_sel:[0,1] op_sel_hi:[1,0]
	v_pk_add_f16 v7, v7, v9 op_sel:[0,1] op_sel_hi:[1,0] neg_lo:[0,1] neg_hi:[0,1]
	v_sub_f16_sdwa v12, v12, v9 dst_sel:DWORD dst_unused:UNUSED_PAD src0_sel:DWORD src1_sel:WORD_1
	v_sub_f16_e32 v9, v10, v9
	v_bfi_b32 v7, s0, v11, v7
	ds_write_b16 v8, v9 offset:1406
	ds_write_b32 v20, v7 offset:156
	ds_write_b16 v8, v12 offset:1404
	ds_read_b32 v7, v20 offset:312
	ds_read_b32 v9, v8 offset:1248
	s_waitcnt lgkmcnt(0)
	v_pk_add_f16 v10, v7, v9 neg_lo:[0,1] neg_hi:[0,1]
	v_pk_add_f16 v7, v7, v9
	v_bfi_b32 v9, s0, v10, v7
	v_bfi_b32 v7, s0, v7, v10
	v_pk_mul_f16 v9, v9, 0.5 op_sel_hi:[1,0]
	v_pk_mul_f16 v7, v7, 0.5 op_sel_hi:[1,0]
	s_waitcnt vmcnt(2)
	v_pk_fma_f16 v10, v13, v9, v7 op_sel:[1,0,0]
	v_pk_mul_f16 v11, v13, v9 op_sel_hi:[0,1]
	v_pk_fma_f16 v12, v13, v9, v7 op_sel:[1,0,0] neg_lo:[1,0,0] neg_hi:[1,0,0]
	v_pk_fma_f16 v7, v13, v9, v7 op_sel:[1,0,0] neg_lo:[0,0,1] neg_hi:[0,0,1]
	v_pk_add_f16 v9, v10, v11 op_sel:[0,1] op_sel_hi:[1,0]
	v_pk_add_f16 v10, v10, v11 op_sel:[0,1] op_sel_hi:[1,0] neg_lo:[0,1] neg_hi:[0,1]
	v_pk_add_f16 v12, v12, v11 op_sel:[0,1] op_sel_hi:[1,0] neg_lo:[0,1] neg_hi:[0,1]
	v_pk_add_f16 v7, v7, v11 op_sel:[0,1] op_sel_hi:[1,0] neg_lo:[0,1] neg_hi:[0,1]
	v_bfi_b32 v9, s0, v9, v10
	v_bfi_b32 v7, s0, v12, v7
	ds_write_b32 v20, v9 offset:312
	ds_write_b32 v8, v7 offset:1248
	ds_read_b32 v7, v20 offset:468
	ds_read_b32 v9, v8 offset:1092
	s_waitcnt lgkmcnt(0)
	v_pk_add_f16 v10, v7, v9 neg_lo:[0,1] neg_hi:[0,1]
	v_pk_add_f16 v7, v7, v9
	v_bfi_b32 v9, s0, v10, v7
	v_bfi_b32 v7, s0, v7, v10
	v_pk_mul_f16 v9, v9, 0.5 op_sel_hi:[1,0]
	v_pk_mul_f16 v7, v7, 0.5 op_sel_hi:[1,0]
	s_waitcnt vmcnt(1)
	v_pk_fma_f16 v10, v14, v9, v7 op_sel:[1,0,0]
	v_pk_mul_f16 v11, v14, v9 op_sel_hi:[0,1]
	v_pk_fma_f16 v12, v14, v9, v7 op_sel:[1,0,0] neg_lo:[1,0,0] neg_hi:[1,0,0]
	v_pk_fma_f16 v7, v14, v9, v7 op_sel:[1,0,0] neg_lo:[0,0,1] neg_hi:[0,0,1]
	v_pk_add_f16 v9, v10, v11 op_sel:[0,1] op_sel_hi:[1,0]
	v_pk_add_f16 v10, v10, v11 op_sel:[0,1] op_sel_hi:[1,0] neg_lo:[0,1] neg_hi:[0,1]
	v_pk_add_f16 v12, v12, v11 op_sel:[0,1] op_sel_hi:[1,0] neg_lo:[0,1] neg_hi:[0,1]
	v_pk_add_f16 v7, v7, v11 op_sel:[0,1] op_sel_hi:[1,0] neg_lo:[0,1] neg_hi:[0,1]
	v_bfi_b32 v9, s0, v9, v10
	v_bfi_b32 v7, s0, v12, v7
	ds_write_b32 v20, v9 offset:468
	ds_write_b32 v8, v7 offset:1092
	;; [unrolled: 22-line block ×3, first 2 shown]
	s_waitcnt lgkmcnt(0)
	s_barrier
	s_and_saveexec_b64 s[0:1], vcc
	s_cbranch_execz .LBB0_25
; %bb.23:
	v_mul_lo_u32 v6, s3, v3
	v_mul_lo_u32 v4, s2, v4
	v_mad_u64_u32 v[7:8], s[0:1], s2, v3, 0
	v_lshl_add_u32 v3, v5, 2, v0
	v_mov_b32_e32 v0, s11
	v_add3_u32 v8, v8, v4, v6
	v_lshlrev_b64 v[7:8], 2, v[7:8]
	v_mov_b32_e32 v6, 0
	v_add_co_u32_e32 v4, vcc, s10, v7
	v_addc_co_u32_e32 v7, vcc, v0, v8, vcc
	v_lshlrev_b64 v[0:1], 2, v[1:2]
	ds_read2_b32 v[9:10], v3 offset1:39
	v_add_co_u32_e32 v0, vcc, v4, v0
	v_addc_co_u32_e32 v1, vcc, v7, v1, vcc
	v_lshlrev_b64 v[7:8], 2, v[5:6]
	v_add_u32_e32 v2, 0x200, v3
	v_add_co_u32_e32 v7, vcc, v0, v7
	v_addc_co_u32_e32 v8, vcc, v1, v8, vcc
	s_waitcnt lgkmcnt(0)
	global_store_dword v[7:8], v9, off
	v_add_u32_e32 v7, 39, v5
	v_mov_b32_e32 v8, v6
	v_lshlrev_b64 v[7:8], 2, v[7:8]
	v_add_co_u32_e32 v7, vcc, v0, v7
	v_addc_co_u32_e32 v8, vcc, v1, v8, vcc
	global_store_dword v[7:8], v10, off
	v_add_u32_e32 v7, 0x4e, v5
	v_mov_b32_e32 v8, v6
	ds_read2_b32 v[9:10], v3 offset0:78 offset1:117
	v_lshlrev_b64 v[7:8], 2, v[7:8]
	v_add_co_u32_e32 v7, vcc, v0, v7
	v_addc_co_u32_e32 v8, vcc, v1, v8, vcc
	s_waitcnt lgkmcnt(0)
	global_store_dword v[7:8], v9, off
	v_add_u32_e32 v7, 0x75, v5
	v_mov_b32_e32 v8, v6
	v_lshlrev_b64 v[7:8], 2, v[7:8]
	v_add_co_u32_e32 v7, vcc, v0, v7
	v_addc_co_u32_e32 v8, vcc, v1, v8, vcc
	global_store_dword v[7:8], v10, off
	v_add_u32_e32 v7, 0x9c, v5
	v_mov_b32_e32 v8, v6
	ds_read2_b32 v[9:10], v3 offset0:156 offset1:195
	v_lshlrev_b64 v[7:8], 2, v[7:8]
	v_add_co_u32_e32 v7, vcc, v0, v7
	v_addc_co_u32_e32 v8, vcc, v1, v8, vcc
	s_waitcnt lgkmcnt(0)
	global_store_dword v[7:8], v9, off
	v_add_u32_e32 v7, 0xc3, v5
	v_mov_b32_e32 v8, v6
	v_lshlrev_b64 v[7:8], 2, v[7:8]
	v_add_co_u32_e32 v7, vcc, v0, v7
	v_addc_co_u32_e32 v8, vcc, v1, v8, vcc
	global_store_dword v[7:8], v10, off
	v_add_u32_e32 v7, 0xea, v5
	v_mov_b32_e32 v8, v6
	ds_read2_b32 v[9:10], v2 offset0:106 offset1:145
	v_lshlrev_b64 v[7:8], 2, v[7:8]
	v_add_u32_e32 v2, 0x400, v3
	v_add_co_u32_e32 v7, vcc, v0, v7
	v_addc_co_u32_e32 v8, vcc, v1, v8, vcc
	s_waitcnt lgkmcnt(0)
	global_store_dword v[7:8], v9, off
	v_add_u32_e32 v7, 0x111, v5
	v_mov_b32_e32 v8, v6
	v_lshlrev_b64 v[7:8], 2, v[7:8]
	v_add_co_u32_e32 v7, vcc, v0, v7
	v_addc_co_u32_e32 v8, vcc, v1, v8, vcc
	global_store_dword v[7:8], v10, off
	v_add_u32_e32 v7, 0x138, v5
	v_mov_b32_e32 v8, v6
	ds_read2_b32 v[9:10], v2 offset0:56 offset1:95
	v_lshlrev_b64 v[7:8], 2, v[7:8]
	v_add_co_u32_e32 v7, vcc, v0, v7
	v_addc_co_u32_e32 v8, vcc, v1, v8, vcc
	s_waitcnt lgkmcnt(0)
	global_store_dword v[7:8], v9, off
	v_add_u32_e32 v7, 0x15f, v5
	v_mov_b32_e32 v8, v6
	v_lshlrev_b64 v[6:7], 2, v[7:8]
	v_add_co_u32_e32 v6, vcc, v0, v6
	v_addc_co_u32_e32 v7, vcc, v1, v7, vcc
	v_cmp_eq_u32_e32 vcc, 38, v5
	global_store_dword v[6:7], v10, off
	s_and_b64 exec, exec, vcc
	s_cbranch_execz .LBB0_25
; %bb.24:
	ds_read_b32 v2, v3 offset:1408
	s_waitcnt lgkmcnt(0)
	global_store_dword v[0:1], v2, off offset:1560
.LBB0_25:
	s_endpgm
	.section	.rodata,"a",@progbits
	.p2align	6, 0x0
	.amdhsa_kernel fft_rtc_fwd_len390_factors_13_3_10_wgs_117_tpt_39_half_op_CI_CI_unitstride_sbrr_R2C_dirReg
		.amdhsa_group_segment_fixed_size 0
		.amdhsa_private_segment_fixed_size 0
		.amdhsa_kernarg_size 104
		.amdhsa_user_sgpr_count 6
		.amdhsa_user_sgpr_private_segment_buffer 1
		.amdhsa_user_sgpr_dispatch_ptr 0
		.amdhsa_user_sgpr_queue_ptr 0
		.amdhsa_user_sgpr_kernarg_segment_ptr 1
		.amdhsa_user_sgpr_dispatch_id 0
		.amdhsa_user_sgpr_flat_scratch_init 0
		.amdhsa_user_sgpr_private_segment_size 0
		.amdhsa_uses_dynamic_stack 0
		.amdhsa_system_sgpr_private_segment_wavefront_offset 0
		.amdhsa_system_sgpr_workgroup_id_x 1
		.amdhsa_system_sgpr_workgroup_id_y 0
		.amdhsa_system_sgpr_workgroup_id_z 0
		.amdhsa_system_sgpr_workgroup_info 0
		.amdhsa_system_vgpr_workitem_id 0
		.amdhsa_next_free_vgpr 125
		.amdhsa_next_free_sgpr 31
		.amdhsa_reserve_vcc 1
		.amdhsa_reserve_flat_scratch 0
		.amdhsa_float_round_mode_32 0
		.amdhsa_float_round_mode_16_64 0
		.amdhsa_float_denorm_mode_32 3
		.amdhsa_float_denorm_mode_16_64 3
		.amdhsa_dx10_clamp 1
		.amdhsa_ieee_mode 1
		.amdhsa_fp16_overflow 0
		.amdhsa_exception_fp_ieee_invalid_op 0
		.amdhsa_exception_fp_denorm_src 0
		.amdhsa_exception_fp_ieee_div_zero 0
		.amdhsa_exception_fp_ieee_overflow 0
		.amdhsa_exception_fp_ieee_underflow 0
		.amdhsa_exception_fp_ieee_inexact 0
		.amdhsa_exception_int_div_zero 0
	.end_amdhsa_kernel
	.text
.Lfunc_end0:
	.size	fft_rtc_fwd_len390_factors_13_3_10_wgs_117_tpt_39_half_op_CI_CI_unitstride_sbrr_R2C_dirReg, .Lfunc_end0-fft_rtc_fwd_len390_factors_13_3_10_wgs_117_tpt_39_half_op_CI_CI_unitstride_sbrr_R2C_dirReg
                                        ; -- End function
	.section	.AMDGPU.csdata,"",@progbits
; Kernel info:
; codeLenInByte = 8848
; NumSgprs: 35
; NumVgprs: 125
; ScratchSize: 0
; MemoryBound: 0
; FloatMode: 240
; IeeeMode: 1
; LDSByteSize: 0 bytes/workgroup (compile time only)
; SGPRBlocks: 4
; VGPRBlocks: 31
; NumSGPRsForWavesPerEU: 35
; NumVGPRsForWavesPerEU: 125
; Occupancy: 2
; WaveLimiterHint : 1
; COMPUTE_PGM_RSRC2:SCRATCH_EN: 0
; COMPUTE_PGM_RSRC2:USER_SGPR: 6
; COMPUTE_PGM_RSRC2:TRAP_HANDLER: 0
; COMPUTE_PGM_RSRC2:TGID_X_EN: 1
; COMPUTE_PGM_RSRC2:TGID_Y_EN: 0
; COMPUTE_PGM_RSRC2:TGID_Z_EN: 0
; COMPUTE_PGM_RSRC2:TIDIG_COMP_CNT: 0
	.type	__hip_cuid_a908d89a2f3c079e,@object ; @__hip_cuid_a908d89a2f3c079e
	.section	.bss,"aw",@nobits
	.globl	__hip_cuid_a908d89a2f3c079e
__hip_cuid_a908d89a2f3c079e:
	.byte	0                               ; 0x0
	.size	__hip_cuid_a908d89a2f3c079e, 1

	.ident	"AMD clang version 19.0.0git (https://github.com/RadeonOpenCompute/llvm-project roc-6.4.0 25133 c7fe45cf4b819c5991fe208aaa96edf142730f1d)"
	.section	".note.GNU-stack","",@progbits
	.addrsig
	.addrsig_sym __hip_cuid_a908d89a2f3c079e
	.amdgpu_metadata
---
amdhsa.kernels:
  - .args:
      - .actual_access:  read_only
        .address_space:  global
        .offset:         0
        .size:           8
        .value_kind:     global_buffer
      - .offset:         8
        .size:           8
        .value_kind:     by_value
      - .actual_access:  read_only
        .address_space:  global
        .offset:         16
        .size:           8
        .value_kind:     global_buffer
      - .actual_access:  read_only
        .address_space:  global
        .offset:         24
        .size:           8
        .value_kind:     global_buffer
      - .actual_access:  read_only
        .address_space:  global
        .offset:         32
        .size:           8
        .value_kind:     global_buffer
      - .offset:         40
        .size:           8
        .value_kind:     by_value
      - .actual_access:  read_only
        .address_space:  global
        .offset:         48
        .size:           8
        .value_kind:     global_buffer
      - .actual_access:  read_only
        .address_space:  global
        .offset:         56
        .size:           8
        .value_kind:     global_buffer
      - .offset:         64
        .size:           4
        .value_kind:     by_value
      - .actual_access:  read_only
        .address_space:  global
        .offset:         72
        .size:           8
        .value_kind:     global_buffer
      - .actual_access:  read_only
        .address_space:  global
        .offset:         80
        .size:           8
        .value_kind:     global_buffer
      - .actual_access:  read_only
        .address_space:  global
        .offset:         88
        .size:           8
        .value_kind:     global_buffer
      - .actual_access:  write_only
        .address_space:  global
        .offset:         96
        .size:           8
        .value_kind:     global_buffer
    .group_segment_fixed_size: 0
    .kernarg_segment_align: 8
    .kernarg_segment_size: 104
    .language:       OpenCL C
    .language_version:
      - 2
      - 0
    .max_flat_workgroup_size: 117
    .name:           fft_rtc_fwd_len390_factors_13_3_10_wgs_117_tpt_39_half_op_CI_CI_unitstride_sbrr_R2C_dirReg
    .private_segment_fixed_size: 0
    .sgpr_count:     35
    .sgpr_spill_count: 0
    .symbol:         fft_rtc_fwd_len390_factors_13_3_10_wgs_117_tpt_39_half_op_CI_CI_unitstride_sbrr_R2C_dirReg.kd
    .uniform_work_group_size: 1
    .uses_dynamic_stack: false
    .vgpr_count:     125
    .vgpr_spill_count: 0
    .wavefront_size: 64
amdhsa.target:   amdgcn-amd-amdhsa--gfx906
amdhsa.version:
  - 1
  - 2
...

	.end_amdgpu_metadata
